;; amdgpu-corpus repo=ROCm/rocFFT kind=compiled arch=gfx1201 opt=O3
	.text
	.amdgcn_target "amdgcn-amd-amdhsa--gfx1201"
	.amdhsa_code_object_version 6
	.protected	fft_rtc_fwd_len1584_factors_4_2_2_11_3_3_wgs_176_tpt_176_halfLds_dp_op_CI_CI_sbrr_dirReg ; -- Begin function fft_rtc_fwd_len1584_factors_4_2_2_11_3_3_wgs_176_tpt_176_halfLds_dp_op_CI_CI_sbrr_dirReg
	.globl	fft_rtc_fwd_len1584_factors_4_2_2_11_3_3_wgs_176_tpt_176_halfLds_dp_op_CI_CI_sbrr_dirReg
	.p2align	8
	.type	fft_rtc_fwd_len1584_factors_4_2_2_11_3_3_wgs_176_tpt_176_halfLds_dp_op_CI_CI_sbrr_dirReg,@function
fft_rtc_fwd_len1584_factors_4_2_2_11_3_3_wgs_176_tpt_176_halfLds_dp_op_CI_CI_sbrr_dirReg: ; @fft_rtc_fwd_len1584_factors_4_2_2_11_3_3_wgs_176_tpt_176_halfLds_dp_op_CI_CI_sbrr_dirReg
; %bb.0:
	s_clause 0x2
	s_load_b128 s[12:15], s[0:1], 0x18
	s_load_b128 s[8:11], s[0:1], 0x0
	;; [unrolled: 1-line block ×3, first 2 shown]
	v_mul_u32_u24_e32 v1, 0x175, v0
	v_mov_b32_e32 v4, 0
	v_mov_b32_e32 v5, 0
	s_wait_kmcnt 0x0
	s_load_b64 s[18:19], s[12:13], 0x0
	s_load_b64 s[16:17], s[14:15], 0x0
	v_lshrrev_b32_e32 v2, 16, v1
	v_mov_b32_e32 v1, 0
	v_cmp_lt_u64_e64 s2, s[10:11], 2
	s_delay_alu instid0(VALU_DEP_2) | instskip(NEXT) | instid1(VALU_DEP_2)
	v_dual_mov_b32 v7, v1 :: v_dual_add_nc_u32 v6, ttmp9, v2
	s_and_b32 vcc_lo, exec_lo, s2
	s_cbranch_vccnz .LBB0_8
; %bb.1:
	s_load_b64 s[2:3], s[0:1], 0x10
	v_mov_b32_e32 v4, 0
	v_mov_b32_e32 v5, 0
	s_add_nc_u64 s[20:21], s[14:15], 8
	s_add_nc_u64 s[22:23], s[12:13], 8
	s_mov_b64 s[24:25], 1
	s_delay_alu instid0(VALU_DEP_1)
	v_dual_mov_b32 v57, v5 :: v_dual_mov_b32 v56, v4
	s_wait_kmcnt 0x0
	s_add_nc_u64 s[26:27], s[2:3], 8
	s_mov_b32 s3, 0
.LBB0_2:                                ; =>This Inner Loop Header: Depth=1
	s_load_b64 s[28:29], s[26:27], 0x0
                                        ; implicit-def: $vgpr58_vgpr59
	s_mov_b32 s2, exec_lo
	s_wait_kmcnt 0x0
	v_or_b32_e32 v2, s29, v7
	s_delay_alu instid0(VALU_DEP_1)
	v_cmpx_ne_u64_e32 0, v[1:2]
	s_wait_alu 0xfffe
	s_xor_b32 s30, exec_lo, s2
	s_cbranch_execz .LBB0_4
; %bb.3:                                ;   in Loop: Header=BB0_2 Depth=1
	s_cvt_f32_u32 s2, s28
	s_cvt_f32_u32 s31, s29
	s_sub_nc_u64 s[36:37], 0, s[28:29]
	s_wait_alu 0xfffe
	s_delay_alu instid0(SALU_CYCLE_1) | instskip(SKIP_1) | instid1(SALU_CYCLE_2)
	s_fmamk_f32 s2, s31, 0x4f800000, s2
	s_wait_alu 0xfffe
	v_s_rcp_f32 s2, s2
	s_delay_alu instid0(TRANS32_DEP_1) | instskip(SKIP_1) | instid1(SALU_CYCLE_2)
	s_mul_f32 s2, s2, 0x5f7ffffc
	s_wait_alu 0xfffe
	s_mul_f32 s31, s2, 0x2f800000
	s_wait_alu 0xfffe
	s_delay_alu instid0(SALU_CYCLE_2) | instskip(SKIP_1) | instid1(SALU_CYCLE_2)
	s_trunc_f32 s31, s31
	s_wait_alu 0xfffe
	s_fmamk_f32 s2, s31, 0xcf800000, s2
	s_cvt_u32_f32 s35, s31
	s_wait_alu 0xfffe
	s_delay_alu instid0(SALU_CYCLE_1) | instskip(SKIP_1) | instid1(SALU_CYCLE_2)
	s_cvt_u32_f32 s34, s2
	s_wait_alu 0xfffe
	s_mul_u64 s[38:39], s[36:37], s[34:35]
	s_wait_alu 0xfffe
	s_mul_hi_u32 s41, s34, s39
	s_mul_i32 s40, s34, s39
	s_mul_hi_u32 s2, s34, s38
	s_mul_i32 s33, s35, s38
	s_wait_alu 0xfffe
	s_add_nc_u64 s[40:41], s[2:3], s[40:41]
	s_mul_hi_u32 s31, s35, s38
	s_mul_hi_u32 s42, s35, s39
	s_add_co_u32 s2, s40, s33
	s_wait_alu 0xfffe
	s_add_co_ci_u32 s2, s41, s31
	s_mul_i32 s38, s35, s39
	s_add_co_ci_u32 s39, s42, 0
	s_wait_alu 0xfffe
	s_add_nc_u64 s[38:39], s[2:3], s[38:39]
	s_wait_alu 0xfffe
	v_add_co_u32 v2, s2, s34, s38
	s_delay_alu instid0(VALU_DEP_1) | instskip(SKIP_1) | instid1(VALU_DEP_1)
	s_cmp_lg_u32 s2, 0
	s_add_co_ci_u32 s35, s35, s39
	v_readfirstlane_b32 s34, v2
	s_wait_alu 0xfffe
	s_delay_alu instid0(VALU_DEP_1)
	s_mul_u64 s[36:37], s[36:37], s[34:35]
	s_wait_alu 0xfffe
	s_mul_hi_u32 s39, s34, s37
	s_mul_i32 s38, s34, s37
	s_mul_hi_u32 s2, s34, s36
	s_mul_i32 s33, s35, s36
	s_wait_alu 0xfffe
	s_add_nc_u64 s[38:39], s[2:3], s[38:39]
	s_mul_hi_u32 s31, s35, s36
	s_mul_hi_u32 s34, s35, s37
	s_wait_alu 0xfffe
	s_add_co_u32 s2, s38, s33
	s_add_co_ci_u32 s2, s39, s31
	s_mul_i32 s36, s35, s37
	s_add_co_ci_u32 s37, s34, 0
	s_wait_alu 0xfffe
	s_add_nc_u64 s[36:37], s[2:3], s[36:37]
	s_wait_alu 0xfffe
	v_add_co_u32 v8, s2, v2, s36
	s_delay_alu instid0(VALU_DEP_1) | instskip(SKIP_1) | instid1(VALU_DEP_1)
	s_cmp_lg_u32 s2, 0
	s_add_co_ci_u32 s2, s35, s37
	v_mul_hi_u32 v12, v6, v8
	s_wait_alu 0xfffe
	v_mad_co_u64_u32 v[2:3], null, v6, s2, 0
	v_mad_co_u64_u32 v[8:9], null, v7, v8, 0
	;; [unrolled: 1-line block ×3, first 2 shown]
	s_delay_alu instid0(VALU_DEP_3) | instskip(SKIP_1) | instid1(VALU_DEP_4)
	v_add_co_u32 v2, vcc_lo, v12, v2
	s_wait_alu 0xfffd
	v_add_co_ci_u32_e32 v3, vcc_lo, 0, v3, vcc_lo
	s_delay_alu instid0(VALU_DEP_2) | instskip(SKIP_1) | instid1(VALU_DEP_2)
	v_add_co_u32 v2, vcc_lo, v2, v8
	s_wait_alu 0xfffd
	v_add_co_ci_u32_e32 v2, vcc_lo, v3, v9, vcc_lo
	s_wait_alu 0xfffd
	v_add_co_ci_u32_e32 v3, vcc_lo, 0, v11, vcc_lo
	s_delay_alu instid0(VALU_DEP_2) | instskip(SKIP_1) | instid1(VALU_DEP_2)
	v_add_co_u32 v8, vcc_lo, v2, v10
	s_wait_alu 0xfffd
	v_add_co_ci_u32_e32 v9, vcc_lo, 0, v3, vcc_lo
	s_delay_alu instid0(VALU_DEP_2) | instskip(SKIP_1) | instid1(VALU_DEP_3)
	v_mul_lo_u32 v10, s29, v8
	v_mad_co_u64_u32 v[2:3], null, s28, v8, 0
	v_mul_lo_u32 v11, s28, v9
	s_delay_alu instid0(VALU_DEP_2) | instskip(NEXT) | instid1(VALU_DEP_2)
	v_sub_co_u32 v2, vcc_lo, v6, v2
	v_add3_u32 v3, v3, v11, v10
	s_delay_alu instid0(VALU_DEP_1) | instskip(SKIP_1) | instid1(VALU_DEP_1)
	v_sub_nc_u32_e32 v10, v7, v3
	s_wait_alu 0xfffd
	v_subrev_co_ci_u32_e64 v10, s2, s29, v10, vcc_lo
	v_add_co_u32 v11, s2, v8, 2
	s_wait_alu 0xf1ff
	v_add_co_ci_u32_e64 v12, s2, 0, v9, s2
	v_sub_co_u32 v13, s2, v2, s28
	v_sub_co_ci_u32_e32 v3, vcc_lo, v7, v3, vcc_lo
	s_wait_alu 0xf1ff
	v_subrev_co_ci_u32_e64 v10, s2, 0, v10, s2
	s_delay_alu instid0(VALU_DEP_3) | instskip(NEXT) | instid1(VALU_DEP_3)
	v_cmp_le_u32_e32 vcc_lo, s28, v13
	v_cmp_eq_u32_e64 s2, s29, v3
	s_wait_alu 0xfffd
	v_cndmask_b32_e64 v13, 0, -1, vcc_lo
	v_cmp_le_u32_e32 vcc_lo, s29, v10
	s_wait_alu 0xfffd
	v_cndmask_b32_e64 v14, 0, -1, vcc_lo
	v_cmp_le_u32_e32 vcc_lo, s28, v2
	;; [unrolled: 3-line block ×3, first 2 shown]
	s_wait_alu 0xfffd
	v_cndmask_b32_e64 v15, 0, -1, vcc_lo
	v_cmp_eq_u32_e32 vcc_lo, s29, v10
	s_wait_alu 0xf1ff
	s_delay_alu instid0(VALU_DEP_2)
	v_cndmask_b32_e64 v2, v15, v2, s2
	s_wait_alu 0xfffd
	v_cndmask_b32_e32 v10, v14, v13, vcc_lo
	v_add_co_u32 v13, vcc_lo, v8, 1
	s_wait_alu 0xfffd
	v_add_co_ci_u32_e32 v14, vcc_lo, 0, v9, vcc_lo
	s_delay_alu instid0(VALU_DEP_3) | instskip(SKIP_1) | instid1(VALU_DEP_2)
	v_cmp_ne_u32_e32 vcc_lo, 0, v10
	s_wait_alu 0xfffd
	v_dual_cndmask_b32 v3, v14, v12 :: v_dual_cndmask_b32 v10, v13, v11
	v_cmp_ne_u32_e32 vcc_lo, 0, v2
	s_wait_alu 0xfffd
	s_delay_alu instid0(VALU_DEP_2)
	v_dual_cndmask_b32 v59, v9, v3 :: v_dual_cndmask_b32 v58, v8, v10
.LBB0_4:                                ;   in Loop: Header=BB0_2 Depth=1
	s_wait_alu 0xfffe
	s_and_not1_saveexec_b32 s2, s30
	s_cbranch_execz .LBB0_6
; %bb.5:                                ;   in Loop: Header=BB0_2 Depth=1
	v_cvt_f32_u32_e32 v2, s28
	s_sub_co_i32 s30, 0, s28
	v_mov_b32_e32 v59, v1
	s_delay_alu instid0(VALU_DEP_2) | instskip(NEXT) | instid1(TRANS32_DEP_1)
	v_rcp_iflag_f32_e32 v2, v2
	v_mul_f32_e32 v2, 0x4f7ffffe, v2
	s_delay_alu instid0(VALU_DEP_1) | instskip(SKIP_1) | instid1(VALU_DEP_1)
	v_cvt_u32_f32_e32 v2, v2
	s_wait_alu 0xfffe
	v_mul_lo_u32 v3, s30, v2
	s_delay_alu instid0(VALU_DEP_1) | instskip(NEXT) | instid1(VALU_DEP_1)
	v_mul_hi_u32 v3, v2, v3
	v_add_nc_u32_e32 v2, v2, v3
	s_delay_alu instid0(VALU_DEP_1) | instskip(NEXT) | instid1(VALU_DEP_1)
	v_mul_hi_u32 v2, v6, v2
	v_mul_lo_u32 v3, v2, s28
	v_add_nc_u32_e32 v8, 1, v2
	s_delay_alu instid0(VALU_DEP_2) | instskip(NEXT) | instid1(VALU_DEP_1)
	v_sub_nc_u32_e32 v3, v6, v3
	v_subrev_nc_u32_e32 v9, s28, v3
	v_cmp_le_u32_e32 vcc_lo, s28, v3
	s_wait_alu 0xfffd
	s_delay_alu instid0(VALU_DEP_2) | instskip(NEXT) | instid1(VALU_DEP_1)
	v_dual_cndmask_b32 v3, v3, v9 :: v_dual_cndmask_b32 v2, v2, v8
	v_cmp_le_u32_e32 vcc_lo, s28, v3
	s_delay_alu instid0(VALU_DEP_2) | instskip(SKIP_1) | instid1(VALU_DEP_1)
	v_add_nc_u32_e32 v8, 1, v2
	s_wait_alu 0xfffd
	v_cndmask_b32_e32 v58, v2, v8, vcc_lo
.LBB0_6:                                ;   in Loop: Header=BB0_2 Depth=1
	s_wait_alu 0xfffe
	s_or_b32 exec_lo, exec_lo, s2
	v_mul_lo_u32 v8, v59, s28
	s_delay_alu instid0(VALU_DEP_2)
	v_mul_lo_u32 v9, v58, s29
	s_load_b64 s[30:31], s[22:23], 0x0
	v_mad_co_u64_u32 v[2:3], null, v58, s28, 0
	s_load_b64 s[28:29], s[20:21], 0x0
	s_add_nc_u64 s[24:25], s[24:25], 1
	s_add_nc_u64 s[20:21], s[20:21], 8
	s_wait_alu 0xfffe
	v_cmp_ge_u64_e64 s2, s[24:25], s[10:11]
	s_add_nc_u64 s[22:23], s[22:23], 8
	s_add_nc_u64 s[26:27], s[26:27], 8
	v_add3_u32 v3, v3, v9, v8
	v_sub_co_u32 v2, vcc_lo, v6, v2
	s_wait_alu 0xfffd
	s_delay_alu instid0(VALU_DEP_2) | instskip(SKIP_2) | instid1(VALU_DEP_1)
	v_sub_co_ci_u32_e32 v3, vcc_lo, v7, v3, vcc_lo
	s_and_b32 vcc_lo, exec_lo, s2
	s_wait_kmcnt 0x0
	v_mul_lo_u32 v6, s30, v3
	v_mul_lo_u32 v7, s31, v2
	v_mad_co_u64_u32 v[4:5], null, s30, v2, v[4:5]
	v_mul_lo_u32 v3, s28, v3
	v_mul_lo_u32 v8, s29, v2
	v_mad_co_u64_u32 v[56:57], null, s28, v2, v[56:57]
	s_delay_alu instid0(VALU_DEP_4) | instskip(NEXT) | instid1(VALU_DEP_2)
	v_add3_u32 v5, v7, v5, v6
	v_add3_u32 v57, v8, v57, v3
	s_wait_alu 0xfffe
	s_cbranch_vccnz .LBB0_9
; %bb.7:                                ;   in Loop: Header=BB0_2 Depth=1
	v_dual_mov_b32 v6, v58 :: v_dual_mov_b32 v7, v59
	s_branch .LBB0_2
.LBB0_8:
	v_dual_mov_b32 v57, v5 :: v_dual_mov_b32 v56, v4
	s_delay_alu instid0(VALU_DEP_2)
	v_dual_mov_b32 v59, v7 :: v_dual_mov_b32 v58, v6
.LBB0_9:
	s_load_b64 s[0:1], s[0:1], 0x28
	v_mul_hi_u32 v1, 0x1745d18, v0
	s_lshl_b64 s[10:11], s[10:11], 3
                                        ; implicit-def: $vgpr76
                                        ; implicit-def: $vgpr62
	s_wait_alu 0xfffe
	s_add_nc_u64 s[2:3], s[14:15], s[10:11]
	s_wait_kmcnt 0x0
	v_cmp_gt_u64_e32 vcc_lo, s[0:1], v[58:59]
	v_cmp_le_u64_e64 s0, s[0:1], v[58:59]
	s_delay_alu instid0(VALU_DEP_1)
	s_and_saveexec_b32 s1, s0
	s_wait_alu 0xfffe
	s_xor_b32 s0, exec_lo, s1
; %bb.10:
	v_mul_u32_u24_e32 v1, 0xb0, v1
                                        ; implicit-def: $vgpr4_vgpr5
	s_delay_alu instid0(VALU_DEP_1) | instskip(NEXT) | instid1(VALU_DEP_1)
	v_sub_nc_u32_e32 v76, v0, v1
                                        ; implicit-def: $vgpr1
                                        ; implicit-def: $vgpr0
	v_add_nc_u32_e32 v62, 0xb0, v76
; %bb.11:
	s_wait_alu 0xfffe
	s_or_saveexec_b32 s1, s0
	s_load_b64 s[2:3], s[2:3], 0x0
                                        ; implicit-def: $vgpr2_vgpr3
                                        ; implicit-def: $vgpr24_vgpr25
                                        ; implicit-def: $vgpr12_vgpr13
                                        ; implicit-def: $vgpr20_vgpr21
                                        ; implicit-def: $vgpr34_vgpr35
                                        ; implicit-def: $vgpr38_vgpr39
                                        ; implicit-def: $vgpr50_vgpr51
                                        ; implicit-def: $vgpr30_vgpr31
                                        ; implicit-def: $vgpr46_vgpr47
                                        ; implicit-def: $vgpr16_vgpr17
                                        ; implicit-def: $vgpr42_vgpr43
                                        ; implicit-def: $vgpr8_vgpr9
	s_xor_b32 exec_lo, exec_lo, s1
	s_cbranch_execz .LBB0_15
; %bb.12:
	s_add_nc_u64 s[10:11], s[12:13], s[10:11]
	v_mul_u32_u24_e32 v1, 0xb0, v1
	s_load_b64 s[10:11], s[10:11], 0x0
	v_lshlrev_b64_e32 v[4:5], 4, v[4:5]
                                        ; implicit-def: $vgpr28_vgpr29
                                        ; implicit-def: $vgpr48_vgpr49
                                        ; implicit-def: $vgpr36_vgpr37
                                        ; implicit-def: $vgpr32_vgpr33
	s_delay_alu instid0(VALU_DEP_2) | instskip(NEXT) | instid1(VALU_DEP_1)
	v_sub_nc_u32_e32 v76, v0, v1
	v_mad_co_u64_u32 v[0:1], null, s18, v76, 0
	v_add_nc_u32_e32 v21, 0x23c, v76
	v_add_nc_u32_e32 v24, 0x3c8, v76
	s_delay_alu instid0(VALU_DEP_1)
	v_mad_co_u64_u32 v[19:20], null, s18, v24, 0
	v_add_nc_u32_e32 v25, 0x554, v76
	s_wait_kmcnt 0x0
	v_mad_co_u64_u32 v[2:3], null, s10, v58, 0
	v_mul_lo_u32 v12, s11, v58
	v_mul_lo_u32 v13, s10, v59
	s_delay_alu instid0(VALU_DEP_3) | instskip(SKIP_1) | instid1(VALU_DEP_3)
	v_mad_co_u64_u32 v[8:9], null, s19, v76, v[1:2]
	v_add_nc_u32_e32 v16, 0x4a4, v76
	v_add3_u32 v3, v3, v13, v12
	s_delay_alu instid0(VALU_DEP_3) | instskip(NEXT) | instid1(VALU_DEP_3)
	v_mov_b32_e32 v1, v8
	v_mad_co_u64_u32 v[12:13], null, s18, v16, 0
	v_add_nc_u32_e32 v15, 0x318, v76
	s_delay_alu instid0(VALU_DEP_4) | instskip(NEXT) | instid1(VALU_DEP_4)
	v_lshlrev_b64_e32 v[2:3], 4, v[2:3]
	v_lshlrev_b64_e32 v[0:1], 4, v[0:1]
	s_delay_alu instid0(VALU_DEP_3) | instskip(SKIP_1) | instid1(VALU_DEP_4)
	v_mad_co_u64_u32 v[10:11], null, s18, v15, 0
	v_add_nc_u32_e32 v14, 0x18c, v76
	v_add_co_u32 v2, s0, s4, v2
	s_wait_alu 0xf1ff
	v_add_co_ci_u32_e64 v3, s0, s5, v3, s0
	s_mov_b32 s4, exec_lo
	s_delay_alu instid0(VALU_DEP_4) | instskip(SKIP_4) | instid1(VALU_DEP_2)
	v_mov_b32_e32 v9, v11
	v_mad_co_u64_u32 v[6:7], null, s18, v14, 0
	v_add_co_u32 v4, s0, v2, v4
	s_wait_alu 0xf1ff
	v_add_co_ci_u32_e64 v5, s0, v3, v5, s0
	v_add_co_u32 v0, s0, v4, v0
	s_delay_alu instid0(VALU_DEP_4) | instskip(SKIP_1) | instid1(VALU_DEP_3)
	v_mad_co_u64_u32 v[7:8], null, s19, v14, v[7:8]
	s_wait_alu 0xf1ff
	v_add_co_ci_u32_e64 v1, s0, v5, v1, s0
	s_delay_alu instid0(VALU_DEP_2) | instskip(SKIP_3) | instid1(VALU_DEP_3)
	v_lshlrev_b64_e32 v[2:3], 4, v[6:7]
	v_mov_b32_e32 v6, v13
	v_mad_co_u64_u32 v[8:9], null, s19, v15, v[9:10]
	v_add_nc_u32_e32 v62, 0xb0, v76
	v_mad_co_u64_u32 v[16:17], null, s19, v16, v[6:7]
	v_mad_co_u64_u32 v[17:18], null, s18, v21, 0
	s_delay_alu instid0(VALU_DEP_4) | instskip(NEXT) | instid1(VALU_DEP_4)
	v_mov_b32_e32 v11, v8
	v_mad_co_u64_u32 v[14:15], null, s18, v62, 0
	v_add_co_u32 v2, s0, v4, v2
	v_mov_b32_e32 v13, v16
	s_delay_alu instid0(VALU_DEP_4)
	v_lshlrev_b64_e32 v[10:11], 4, v[10:11]
	s_wait_alu 0xf1ff
	v_add_co_ci_u32_e64 v3, s0, v5, v3, s0
	v_mad_co_u64_u32 v[15:16], null, s19, v62, v[15:16]
	v_mov_b32_e32 v16, v18
	v_lshlrev_b64_e32 v[12:13], 4, v[12:13]
	v_add_co_u32 v10, s0, v4, v10
	s_wait_alu 0xf1ff
	v_add_co_ci_u32_e64 v11, s0, v5, v11, s0
	v_mad_co_u64_u32 v[21:22], null, s19, v21, v[16:17]
	v_mov_b32_e32 v16, v20
	v_mad_co_u64_u32 v[22:23], null, s18, v25, 0
	v_lshlrev_b64_e32 v[14:15], 4, v[14:15]
	v_add_co_u32 v12, s0, v4, v12
	v_mov_b32_e32 v18, v21
	v_mad_co_u64_u32 v[20:21], null, s19, v24, v[16:17]
	v_mov_b32_e32 v16, v23
	s_wait_alu 0xf1ff
	v_add_co_ci_u32_e64 v13, s0, v5, v13, s0
	v_add_co_u32 v14, s0, v4, v14
	s_delay_alu instid0(VALU_DEP_3)
	v_mad_co_u64_u32 v[23:24], null, s19, v25, v[16:17]
	v_lshlrev_b64_e32 v[16:17], 4, v[17:18]
	s_wait_alu 0xf1ff
	v_add_co_ci_u32_e64 v15, s0, v5, v15, s0
	v_lshlrev_b64_e32 v[18:19], 4, v[19:20]
	s_clause 0x1
	global_load_b128 v[6:9], v[0:1], off
	global_load_b128 v[0:3], v[2:3], off
	v_add_co_u32 v20, s0, v4, v16
	s_wait_alu 0xf1ff
	v_add_co_ci_u32_e64 v21, s0, v5, v17, s0
	v_lshlrev_b64_e32 v[16:17], 4, v[22:23]
	v_add_co_u32 v18, s0, v4, v18
	s_wait_alu 0xf1ff
	v_add_co_ci_u32_e64 v19, s0, v5, v19, s0
	s_delay_alu instid0(VALU_DEP_3)
	v_add_co_u32 v26, s0, v4, v16
	s_wait_alu 0xf1ff
	v_add_co_ci_u32_e64 v27, s0, v5, v17, s0
	s_clause 0x5
	global_load_b128 v[22:25], v[10:11], off
	global_load_b128 v[40:43], v[12:13], off
	;; [unrolled: 1-line block ×6, first 2 shown]
	v_cmpx_gt_u32_e32 44, v76
	s_cbranch_execz .LBB0_14
; %bb.13:
	v_add_nc_u32_e32 v34, 0x160, v76
	v_add_nc_u32_e32 v36, 0x2ec, v76
	;; [unrolled: 1-line block ×4, first 2 shown]
	s_delay_alu instid0(VALU_DEP_4) | instskip(NEXT) | instid1(VALU_DEP_4)
	v_mad_co_u64_u32 v[26:27], null, s18, v34, 0
	v_mad_co_u64_u32 v[28:29], null, s18, v36, 0
	s_delay_alu instid0(VALU_DEP_4) | instskip(NEXT) | instid1(VALU_DEP_4)
	v_mad_co_u64_u32 v[30:31], null, s18, v37, 0
	v_mad_co_u64_u32 v[32:33], null, s18, v38, 0
	s_delay_alu instid0(VALU_DEP_3) | instskip(NEXT) | instid1(VALU_DEP_1)
	v_mad_co_u64_u32 v[34:35], null, s19, v34, v[27:28]
	v_mov_b32_e32 v27, v34
	s_delay_alu instid0(VALU_DEP_4) | instskip(NEXT) | instid1(VALU_DEP_4)
	v_mad_co_u64_u32 v[35:36], null, s19, v36, v[29:30]
	v_mad_co_u64_u32 v[36:37], null, s19, v37, v[31:32]
	s_delay_alu instid0(VALU_DEP_3) | instskip(NEXT) | instid1(VALU_DEP_3)
	v_lshlrev_b64_e32 v[26:27], 4, v[26:27]
	v_mov_b32_e32 v29, v35
	s_delay_alu instid0(VALU_DEP_3) | instskip(SKIP_1) | instid1(VALU_DEP_3)
	v_mov_b32_e32 v31, v36
	v_mad_co_u64_u32 v[37:38], null, s19, v38, v[33:34]
	v_lshlrev_b64_e32 v[28:29], 4, v[28:29]
	v_add_co_u32 v26, s0, v4, v26
	s_delay_alu instid0(VALU_DEP_4)
	v_lshlrev_b64_e32 v[30:31], 4, v[30:31]
	s_wait_alu 0xf1ff
	v_add_co_ci_u32_e64 v27, s0, v5, v27, s0
	v_mov_b32_e32 v33, v37
	v_add_co_u32 v34, s0, v4, v28
	s_wait_alu 0xf1ff
	v_add_co_ci_u32_e64 v35, s0, v5, v29, s0
	s_delay_alu instid0(VALU_DEP_3) | instskip(SKIP_3) | instid1(VALU_DEP_3)
	v_lshlrev_b64_e32 v[28:29], 4, v[32:33]
	v_add_co_u32 v36, s0, v4, v30
	s_wait_alu 0xf1ff
	v_add_co_ci_u32_e64 v37, s0, v5, v31, s0
	v_add_co_u32 v4, s0, v4, v28
	s_wait_alu 0xf1ff
	v_add_co_ci_u32_e64 v5, s0, v5, v29, s0
	s_clause 0x3
	global_load_b128 v[28:31], v[26:27], off
	global_load_b128 v[32:35], v[34:35], off
	;; [unrolled: 1-line block ×4, first 2 shown]
.LBB0_14:
	s_wait_alu 0xfffe
	s_or_b32 exec_lo, exec_lo, s4
.LBB0_15:
	s_delay_alu instid0(SALU_CYCLE_1)
	s_or_b32 exec_lo, exec_lo, s1
	s_wait_loadcnt 0x5
	v_add_f64_e64 v[26:27], v[6:7], -v[22:23]
	s_wait_loadcnt 0x4
	v_add_f64_e64 v[22:23], v[0:1], -v[40:41]
	s_wait_loadcnt 0x1
	v_add_f64_e64 v[63:64], v[14:15], -v[18:19]
	s_wait_loadcnt 0x0
	v_add_f64_e64 v[18:19], v[10:11], -v[44:45]
	v_add_f64_e64 v[68:69], v[28:29], -v[36:37]
	v_add_f64_e64 v[36:37], v[32:33], -v[48:49]
	;; [unrolled: 1-line block ×5, first 2 shown]
	v_add_nc_u32_e32 v79, 0x160, v76
	v_cmp_gt_u32_e64 s0, 44, v76
	v_fma_f64 v[48:49], v[6:7], 2.0, -v[26:27]
	v_fma_f64 v[0:1], v[0:1], 2.0, -v[22:23]
	;; [unrolled: 1-line block ×6, first 2 shown]
	v_add_f64_e64 v[42:43], v[26:27], -v[60:61]
	v_add_f64_e64 v[6:7], v[68:69], -v[52:53]
	;; [unrolled: 1-line block ×6, first 2 shown]
	v_fma_f64 v[50:51], v[26:27], 2.0, -v[42:43]
	v_fma_f64 v[28:29], v[68:69], 2.0, -v[6:7]
	;; [unrolled: 1-line block ×3, first 2 shown]
	v_lshl_add_u32 v63, v76, 5, 0
	v_fma_f64 v[48:49], v[48:49], 2.0, -v[40:41]
	v_fma_f64 v[64:65], v[14:15], 2.0, -v[44:45]
	v_lshl_add_u32 v14, v62, 5, 0
	v_fma_f64 v[26:27], v[10:11], 2.0, -v[4:5]
	v_lshl_add_u32 v15, v79, 5, 0
	ds_store_b128 v63, v[48:51]
	ds_store_b128 v63, v[40:43] offset:16
	ds_store_b128 v14, v[64:67]
	ds_store_b128 v14, v[44:47] offset:16
	s_and_saveexec_b32 s1, s0
	s_cbranch_execz .LBB0_17
; %bb.16:
	ds_store_b128 v15, v[26:29]
	ds_store_b128 v15, v[4:7] offset:16
.LBB0_17:
	s_wait_alu 0xfffe
	s_or_b32 exec_lo, exec_lo, s1
	v_mad_i32_i24 v78, 0xffffffe8, v76, v63
	v_mad_i32_i24 v6, 0xffffffe8, v62, v14
	global_wb scope:SCOPE_SE
	s_wait_dscnt 0x0
	s_wait_kmcnt 0x0
	s_barrier_signal -1
	s_barrier_wait -1
	v_add_nc_u32_e32 v0, 0x1800, v78
	v_add_nc_u32_e32 v7, 0xa00, v78
	;; [unrolled: 1-line block ×3, first 2 shown]
	global_inv scope:SCOPE_SE
	v_cmp_gt_u32_e64 s1, 0x58, v76
	ds_load_2addr_b64 v[40:43], v0 offset0:24 offset1:200
	ds_load_b64 v[0:1], v78
	ds_load_b64 v[32:33], v6
	ds_load_2addr_b64 v[48:51], v7 offset0:32 offset1:208
	ds_load_2addr_b64 v[44:47], v10 offset0:56 offset1:232
	s_and_saveexec_b32 s4, s1
	s_cbranch_execz .LBB0_19
; %bb.18:
	ds_load_b64 v[26:27], v78 offset:5632
	ds_load_b64 v[28:29], v78 offset:11968
.LBB0_19:
	s_wait_alu 0xfffe
	s_or_b32 exec_lo, exec_lo, s4
	v_add_f64_e64 v[6:7], v[8:9], -v[24:25]
	v_add_f64_e64 v[24:25], v[16:17], -v[20:21]
	;; [unrolled: 1-line block ×3, first 2 shown]
	v_fma_f64 v[2:3], v[2:3], 2.0, -v[60:61]
	v_fma_f64 v[10:11], v[12:13], 2.0, -v[54:55]
	v_fma_f64 v[34:35], v[34:35], 2.0, -v[52:53]
	global_wb scope:SCOPE_SE
	s_wait_dscnt 0x0
	s_barrier_signal -1
	s_barrier_wait -1
	global_inv scope:SCOPE_SE
	v_fma_f64 v[8:9], v[8:9], 2.0, -v[6:7]
	v_fma_f64 v[60:61], v[16:17], 2.0, -v[24:25]
	;; [unrolled: 1-line block ×3, first 2 shown]
	v_add_f64_e32 v[22:23], v[22:23], v[6:7]
	v_add_f64_e32 v[12:13], v[36:37], v[38:39]
	;; [unrolled: 1-line block ×3, first 2 shown]
	v_add_f64_e64 v[20:21], v[8:9], -v[2:3]
	v_add_f64_e64 v[16:17], v[60:61], -v[10:11]
	;; [unrolled: 1-line block ×3, first 2 shown]
	v_fma_f64 v[36:37], v[6:7], 2.0, -v[22:23]
	v_mul_i32_i24_e32 v2, 0xffffffe8, v62
	v_fma_f64 v[54:55], v[24:25], 2.0, -v[18:19]
	v_fma_f64 v[34:35], v[8:9], 2.0, -v[20:21]
	;; [unrolled: 1-line block ×5, first 2 shown]
	ds_store_b128 v63, v[34:37]
	ds_store_b128 v63, v[20:23] offset:16
	ds_store_b128 v14, v[52:55]
	ds_store_b128 v14, v[16:19] offset:16
	s_and_saveexec_b32 s4, s0
	s_cbranch_execz .LBB0_21
; %bb.20:
	ds_store_b128 v15, v[6:9]
	ds_store_b128 v15, v[10:13] offset:16
.LBB0_21:
	s_wait_alu 0xfffe
	s_or_b32 exec_lo, exec_lo, s4
	v_add_nc_u32_e32 v3, 0x1800, v78
	v_add_nc_u32_e32 v77, v14, v2
	;; [unrolled: 1-line block ×4, first 2 shown]
	global_wb scope:SCOPE_SE
	s_wait_dscnt 0x0
	s_barrier_signal -1
	s_barrier_wait -1
	global_inv scope:SCOPE_SE
	ds_load_2addr_b64 v[16:19], v3 offset0:24 offset1:200
	ds_load_b64 v[24:25], v78
	ds_load_b64 v[38:39], v77
	ds_load_2addr_b64 v[12:15], v2 offset0:32 offset1:208
	ds_load_2addr_b64 v[20:23], v20 offset0:56 offset1:232
	s_and_saveexec_b32 s0, s1
	s_cbranch_execz .LBB0_23
; %bb.22:
	ds_load_b64 v[6:7], v78 offset:5632
	ds_load_b64 v[8:9], v78 offset:11968
.LBB0_23:
	s_wait_alu 0xfffe
	s_or_b32 exec_lo, exec_lo, s0
	v_and_b32_e32 v68, 3, v76
	v_lshlrev_b32_e32 v63, 1, v79
	s_delay_alu instid0(VALU_DEP_2)
	v_lshlrev_b32_e32 v2, 4, v68
	global_load_b128 v[34:37], v2, s[8:9]
	global_wb scope:SCOPE_SE
	s_wait_loadcnt_dscnt 0x0
	s_barrier_signal -1
	s_barrier_wait -1
	global_inv scope:SCOPE_SE
	v_mul_f64_e32 v[2:3], v[16:17], v[36:37]
	v_mul_f64_e32 v[60:61], v[8:9], v[36:37]
	;; [unrolled: 1-line block ×5, first 2 shown]
	v_fma_f64 v[2:3], v[40:41], v[34:35], -v[2:3]
	v_fma_f64 v[60:61], v[28:29], v[34:35], -v[60:61]
	;; [unrolled: 1-line block ×5, first 2 shown]
	v_add_f64_e64 v[2:3], v[0:1], -v[2:3]
	v_add_f64_e64 v[64:65], v[26:27], -v[60:61]
	;; [unrolled: 1-line block ×5, first 2 shown]
	v_lshlrev_b32_e32 v61, 1, v76
	v_lshlrev_b32_e32 v60, 1, v62
	s_delay_alu instid0(VALU_DEP_2) | instskip(NEXT) | instid1(VALU_DEP_1)
	v_add_nc_u32_e32 v80, 0x420, v61
	v_and_or_b32 v71, 0x7f8, v80, v68
	v_fma_f64 v[0:1], v[0:1], 2.0, -v[2:3]
	v_fma_f64 v[66:67], v[26:27], 2.0, -v[64:65]
	;; [unrolled: 1-line block ×5, first 2 shown]
	v_add_nc_u32_e32 v26, 0x2c0, v76
	v_and_or_b32 v27, 0x1f8, v61, v68
	v_and_or_b32 v48, 0x3f8, v60, v68
	;; [unrolled: 1-line block ×3, first 2 shown]
	s_delay_alu instid0(VALU_DEP_4) | instskip(NEXT) | instid1(VALU_DEP_4)
	v_lshlrev_b32_e32 v62, 1, v26
	v_lshl_add_u32 v26, v27, 3, 0
	s_delay_alu instid0(VALU_DEP_4) | instskip(NEXT) | instid1(VALU_DEP_4)
	v_lshl_add_u32 v27, v48, 3, 0
	v_lshl_add_u32 v48, v49, 3, 0
	;; [unrolled: 1-line block ×3, first 2 shown]
	ds_store_2addr_b64 v26, v[0:1], v[2:3] offset1:4
	ds_store_2addr_b64 v27, v[32:33], v[30:31] offset1:4
	ds_store_2addr_b64 v48, v[69:70], v[52:53] offset1:4
	ds_store_2addr_b64 v49, v[50:51], v[54:55] offset1:4
	s_and_saveexec_b32 s0, s1
	s_cbranch_execz .LBB0_25
; %bb.24:
	v_and_or_b32 v0, 0x7f8, v62, v68
	s_delay_alu instid0(VALU_DEP_1)
	v_lshl_add_u32 v0, v0, 3, 0
	ds_store_2addr_b64 v0, v[66:67], v[64:65] offset1:4
.LBB0_25:
	s_wait_alu 0xfffe
	s_or_b32 exec_lo, exec_lo, s0
	v_add_nc_u32_e32 v0, 0x1800, v78
	v_add_nc_u32_e32 v30, 0xa00, v78
	;; [unrolled: 1-line block ×3, first 2 shown]
	global_wb scope:SCOPE_SE
	s_wait_dscnt 0x0
	s_barrier_signal -1
	s_barrier_wait -1
	global_inv scope:SCOPE_SE
	ds_load_2addr_b64 v[0:3], v0 offset0:24 offset1:200
	ds_load_b64 v[72:73], v78
	ds_load_b64 v[74:75], v77
	ds_load_2addr_b64 v[52:55], v30 offset0:32 offset1:208
	ds_load_2addr_b64 v[30:33], v31 offset0:56 offset1:232
	s_and_saveexec_b32 s0, s1
	s_cbranch_execz .LBB0_27
; %bb.26:
	ds_load_b64 v[66:67], v78 offset:5632
	ds_load_b64 v[64:65], v78 offset:11968
.LBB0_27:
	s_wait_alu 0xfffe
	s_or_b32 exec_lo, exec_lo, s0
	v_mul_f64_e32 v[40:41], v[40:41], v[36:37]
	v_mul_f64_e32 v[28:29], v[28:29], v[36:37]
	;; [unrolled: 1-line block ×5, first 2 shown]
	global_wb scope:SCOPE_SE
	s_wait_dscnt 0x0
	s_barrier_signal -1
	s_barrier_wait -1
	global_inv scope:SCOPE_SE
	v_fma_f64 v[16:17], v[16:17], v[34:35], v[40:41]
	v_fma_f64 v[8:9], v[8:9], v[34:35], v[28:29]
	;; [unrolled: 1-line block ×5, first 2 shown]
	v_add_f64_e64 v[16:17], v[24:25], -v[16:17]
	v_add_f64_e64 v[42:43], v[6:7], -v[8:9]
	;; [unrolled: 1-line block ×5, first 2 shown]
	v_fma_f64 v[8:9], v[24:25], 2.0, -v[16:17]
	v_fma_f64 v[28:29], v[6:7], 2.0, -v[42:43]
	;; [unrolled: 1-line block ×5, first 2 shown]
	ds_store_2addr_b64 v26, v[8:9], v[16:17] offset1:4
	ds_store_2addr_b64 v27, v[24:25], v[18:19] offset1:4
	ds_store_2addr_b64 v48, v[12:13], v[20:21] offset1:4
	ds_store_2addr_b64 v49, v[14:15], v[22:23] offset1:4
	s_and_saveexec_b32 s0, s1
	s_cbranch_execz .LBB0_29
; %bb.28:
	v_and_or_b32 v6, 0x7f8, v62, v68
	s_delay_alu instid0(VALU_DEP_1)
	v_lshl_add_u32 v6, v6, 3, 0
	ds_store_2addr_b64 v6, v[28:29], v[42:43] offset1:4
.LBB0_29:
	s_wait_alu 0xfffe
	s_or_b32 exec_lo, exec_lo, s0
	v_add_nc_u32_e32 v6, 0x1800, v78
	v_add_nc_u32_e32 v7, 0xa00, v78
	;; [unrolled: 1-line block ×3, first 2 shown]
	global_wb scope:SCOPE_SE
	s_wait_dscnt 0x0
	s_barrier_signal -1
	s_barrier_wait -1
	global_inv scope:SCOPE_SE
	ds_load_2addr_b64 v[34:37], v6 offset0:24 offset1:200
	ds_load_b64 v[68:69], v78
	ds_load_b64 v[70:71], v77
	ds_load_2addr_b64 v[44:47], v7 offset0:32 offset1:208
	ds_load_2addr_b64 v[38:41], v8 offset0:56 offset1:232
	s_and_saveexec_b32 s0, s1
	s_cbranch_execz .LBB0_31
; %bb.30:
	ds_load_b64 v[28:29], v78 offset:5632
	ds_load_b64 v[42:43], v78 offset:11968
.LBB0_31:
	s_wait_alu 0xfffe
	s_or_b32 exec_lo, exec_lo, s0
	v_and_b32_e32 v81, 7, v76
	s_delay_alu instid0(VALU_DEP_1)
	v_lshlrev_b32_e32 v6, 4, v81
	global_load_b128 v[48:51], v6, s[8:9] offset:64
	global_wb scope:SCOPE_SE
	s_wait_loadcnt_dscnt 0x0
	s_barrier_signal -1
	s_barrier_wait -1
	global_inv scope:SCOPE_SE
	v_mul_f64_e32 v[6:7], v[34:35], v[50:51]
	v_mul_f64_e32 v[8:9], v[36:37], v[50:51]
	;; [unrolled: 1-line block ×5, first 2 shown]
	v_fma_f64 v[6:7], v[0:1], v[48:49], -v[6:7]
	v_fma_f64 v[18:19], v[2:3], v[48:49], -v[8:9]
	;; [unrolled: 1-line block ×5, first 2 shown]
	v_add_f64_e64 v[8:9], v[72:73], -v[6:7]
	v_add_f64_e64 v[26:27], v[74:75], -v[18:19]
	v_add_f64_e64 v[22:23], v[52:53], -v[12:13]
	v_add_f64_e64 v[18:19], v[54:55], -v[14:15]
	v_add_f64_e64 v[14:15], v[66:67], -v[16:17]
	v_fma_f64 v[6:7], v[72:73], 2.0, -v[8:9]
	v_fma_f64 v[24:25], v[74:75], 2.0, -v[26:27]
	;; [unrolled: 1-line block ×5, first 2 shown]
	v_and_or_b32 v52, 0x1f0, v61, v81
	v_and_or_b32 v53, 0x3f0, v60, v81
	;; [unrolled: 1-line block ×4, first 2 shown]
	s_delay_alu instid0(VALU_DEP_4) | instskip(NEXT) | instid1(VALU_DEP_4)
	v_lshl_add_u32 v52, v52, 3, 0
	v_lshl_add_u32 v53, v53, 3, 0
	s_delay_alu instid0(VALU_DEP_4) | instskip(NEXT) | instid1(VALU_DEP_4)
	v_lshl_add_u32 v54, v54, 3, 0
	v_lshl_add_u32 v55, v55, 3, 0
	ds_store_2addr_b64 v52, v[6:7], v[8:9] offset1:8
	ds_store_2addr_b64 v53, v[24:25], v[26:27] offset1:8
	;; [unrolled: 1-line block ×4, first 2 shown]
	s_and_saveexec_b32 s0, s1
	s_cbranch_execz .LBB0_33
; %bb.32:
	v_and_or_b32 v66, 0x7f0, v62, v81
	s_delay_alu instid0(VALU_DEP_1)
	v_lshl_add_u32 v66, v66, 3, 0
	ds_store_2addr_b64 v66, v[12:13], v[14:15] offset1:8
.LBB0_33:
	s_wait_alu 0xfffe
	s_or_b32 exec_lo, exec_lo, s0
	v_cmp_gt_u32_e64 s0, 0x90, v76
	global_wb scope:SCOPE_SE
	s_wait_dscnt 0x0
	s_barrier_signal -1
	s_barrier_wait -1
	global_inv scope:SCOPE_SE
	s_and_saveexec_b32 s4, s0
	s_cbranch_execz .LBB0_35
; %bb.34:
	v_add_nc_u32_e32 v4, 0x800, v78
	v_add_nc_u32_e32 v5, 0x1000, v78
	;; [unrolled: 1-line block ×4, first 2 shown]
	ds_load_2addr_b64 v[6:9], v78 offset1:144
	ds_load_2addr_b64 v[24:27], v4 offset0:32 offset1:176
	ds_load_2addr_b64 v[20:23], v5 offset0:64 offset1:208
	;; [unrolled: 1-line block ×3, first 2 shown]
	ds_load_2addr_b64 v[12:15], v13 offset1:144
	ds_load_b64 v[4:5], v78 offset:11520
.LBB0_35:
	s_wait_alu 0xfffe
	s_or_b32 exec_lo, exec_lo, s4
	v_mul_f64_e32 v[0:1], v[0:1], v[50:51]
	v_mul_f64_e32 v[2:3], v[2:3], v[50:51]
	;; [unrolled: 1-line block ×5, first 2 shown]
	global_wb scope:SCOPE_SE
	s_wait_dscnt 0x0
	s_barrier_signal -1
	s_barrier_wait -1
	global_inv scope:SCOPE_SE
	v_fma_f64 v[0:1], v[34:35], v[48:49], v[0:1]
	v_fma_f64 v[34:35], v[36:37], v[48:49], v[2:3]
	;; [unrolled: 1-line block ×5, first 2 shown]
	v_add_f64_e64 v[2:3], v[68:69], -v[0:1]
	v_add_f64_e64 v[42:43], v[70:71], -v[34:35]
	;; [unrolled: 1-line block ×5, first 2 shown]
	v_fma_f64 v[0:1], v[68:69], 2.0, -v[2:3]
	v_fma_f64 v[40:41], v[70:71], 2.0, -v[42:43]
	;; [unrolled: 1-line block ×5, first 2 shown]
	ds_store_2addr_b64 v52, v[0:1], v[2:3] offset1:8
	ds_store_2addr_b64 v53, v[40:41], v[42:43] offset1:8
	ds_store_2addr_b64 v54, v[36:37], v[38:39] offset1:8
	ds_store_2addr_b64 v55, v[32:33], v[34:35] offset1:8
	s_and_saveexec_b32 s4, s1
	s_cbranch_execz .LBB0_37
; %bb.36:
	v_and_or_b32 v44, 0x7f0, v62, v81
	s_delay_alu instid0(VALU_DEP_1)
	v_lshl_add_u32 v44, v44, 3, 0
	ds_store_2addr_b64 v44, v[28:29], v[30:31] offset1:8
.LBB0_37:
	s_wait_alu 0xfffe
	s_or_b32 exec_lo, exec_lo, s4
	global_wb scope:SCOPE_SE
	s_wait_dscnt 0x0
	s_barrier_signal -1
	s_barrier_wait -1
	global_inv scope:SCOPE_SE
	s_and_saveexec_b32 s1, s0
	s_cbranch_execz .LBB0_39
; %bb.38:
	v_add_nc_u32_e32 v10, 0x800, v78
	v_add_nc_u32_e32 v11, 0x1000, v78
	;; [unrolled: 1-line block ×4, first 2 shown]
	ds_load_2addr_b64 v[0:3], v78 offset1:144
	ds_load_2addr_b64 v[40:43], v10 offset0:32 offset1:176
	ds_load_2addr_b64 v[36:39], v11 offset0:64 offset1:208
	;; [unrolled: 1-line block ×3, first 2 shown]
	ds_load_2addr_b64 v[28:31], v29 offset1:144
	ds_load_b64 v[10:11], v78 offset:11520
.LBB0_39:
	s_wait_alu 0xfffe
	s_or_b32 exec_lo, exec_lo, s1
	v_and_b32_e32 v62, 15, v76
	s_delay_alu instid0(VALU_DEP_1) | instskip(NEXT) | instid1(VALU_DEP_1)
	v_mul_u32_u24_e32 v44, 10, v62
	v_lshlrev_b32_e32 v48, 4, v44
	s_clause 0x9
	global_load_b128 v[44:47], v48, s[8:9] offset:208
	global_load_b128 v[52:55], v48, s[8:9] offset:224
	;; [unrolled: 1-line block ×10, first 2 shown]
	global_wb scope:SCOPE_SE
	s_wait_loadcnt_dscnt 0x0
	s_barrier_signal -1
	s_barrier_wait -1
	global_inv scope:SCOPE_SE
	v_mul_f64_e32 v[48:49], v[40:41], v[46:47]
	v_mul_f64_e32 v[46:47], v[24:25], v[46:47]
	v_mul_f64_e32 v[100:101], v[42:43], v[54:55]
	v_mul_f64_e32 v[54:55], v[26:27], v[54:55]
	v_mul_f64_e32 v[102:103], v[36:37], v[66:67]
	v_mul_f64_e32 v[66:67], v[20:21], v[66:67]
	v_mul_f64_e32 v[104:105], v[38:39], v[70:71]
	v_mul_f64_e32 v[70:71], v[22:23], v[70:71]
	v_mul_f64_e32 v[106:107], v[2:3], v[74:75]
	v_mul_f64_e32 v[74:75], v[8:9], v[74:75]
	v_mul_f64_e32 v[108:109], v[32:33], v[82:83]
	v_mul_f64_e32 v[82:83], v[16:17], v[82:83]
	v_mul_f64_e32 v[110:111], v[34:35], v[86:87]
	v_mul_f64_e32 v[86:87], v[18:19], v[86:87]
	v_mul_f64_e32 v[112:113], v[28:29], v[90:91]
	v_mul_f64_e32 v[90:91], v[12:13], v[90:91]
	v_mul_f64_e32 v[114:115], v[30:31], v[94:95]
	v_mul_f64_e32 v[94:95], v[14:15], v[94:95]
	v_mul_f64_e32 v[116:117], v[10:11], v[98:99]
	v_mul_f64_e32 v[98:99], v[4:5], v[98:99]
	v_fma_f64 v[50:51], v[24:25], v[44:45], -v[48:49]
	v_fma_f64 v[46:47], v[40:41], v[44:45], v[46:47]
	v_fma_f64 v[48:49], v[26:27], v[52:53], -v[100:101]
	v_fma_f64 v[44:45], v[42:43], v[52:53], v[54:55]
	;; [unrolled: 2-line block ×10, first 2 shown]
	v_lshrrev_b32_e32 v68, 4, v76
	s_and_saveexec_b32 s1, s0
	s_cbranch_execz .LBB0_41
; %bb.40:
	v_add_f64_e32 v[2:3], v[6:7], v[52:53]
	s_delay_alu instid0(VALU_DEP_3)
	v_add_f64_e64 v[4:5], v[38:39], -v[14:15]
	v_add_f64_e64 v[8:9], v[40:41], -v[24:25]
	;; [unrolled: 1-line block ×4, first 2 shown]
	s_mov_b32 s20, 0xfd768dbf
	s_mov_b32 s26, 0xbb3a28a1
	;; [unrolled: 1-line block ×6, first 2 shown]
	v_add_f64_e64 v[54:55], v[46:47], -v[16:17]
	s_mov_b32 s24, 0x43842ef
	s_mov_b32 s22, 0xf8bb580b
	v_add_f64_e32 v[64:65], v[52:53], v[30:31]
	s_mov_b32 s25, 0xbfefac9e
	s_mov_b32 s23, 0x3fe14ced
	;; [unrolled: 1-line block ×7, first 2 shown]
	s_wait_alu 0xfffe
	s_mov_b32 s30, s24
	s_mov_b32 s34, s20
	;; [unrolled: 1-line block ×9, first 2 shown]
	v_add_f64_e32 v[86:87], v[50:51], v[28:29]
	v_add_f64_e32 v[2:3], v[2:3], v[50:51]
	v_mul_f64_e32 v[66:67], s[20:21], v[4:5]
	v_mul_f64_e32 v[69:70], s[18:19], v[8:9]
	v_mul_f64_e32 v[71:72], s[18:19], v[10:11]
	v_mul_f64_e32 v[73:74], s[26:27], v[4:5]
	v_mul_f64_e32 v[80:81], s[18:19], v[12:13]
	s_mov_b32 s19, 0xbfed1bb4
	v_mul_f64_e32 v[82:83], s[24:25], v[4:5]
	v_mul_f64_e32 v[84:85], s[28:29], v[4:5]
	s_wait_alu 0xfffe
	v_mul_f64_e32 v[4:5], s[18:19], v[4:5]
	v_mul_f64_e32 v[106:107], s[26:27], v[12:13]
	;; [unrolled: 1-line block ×7, first 2 shown]
	s_mov_b32 s18, 0x8764f0ba
	s_mov_b32 s19, 0x3feaeb8c
	v_mul_f64_e32 v[108:109], s[28:29], v[12:13]
	v_mul_f64_e32 v[110:111], s[34:35], v[12:13]
	;; [unrolled: 1-line block ×5, first 2 shown]
	v_add_f64_e32 v[2:3], v[2:3], v[48:49]
	v_fma_f64 v[96:97], v[64:65], s[4:5], v[66:67]
	v_fma_f64 v[66:67], v[64:65], s[4:5], -v[66:67]
	v_fma_f64 v[98:99], v[64:65], s[14:15], v[73:74]
	v_fma_f64 v[73:74], v[64:65], s[14:15], -v[73:74]
	;; [unrolled: 2-line block ×3, first 2 shown]
	s_wait_alu 0xfffe
	v_fma_f64 v[102:103], v[64:65], s[18:19], -v[84:85]
	v_fma_f64 v[104:105], v[64:65], s[10:11], -v[4:5]
	v_fma_f64 v[4:5], v[64:65], s[10:11], v[4:5]
	v_fma_f64 v[64:65], v[64:65], s[18:19], v[84:85]
	v_add_f64_e32 v[84:85], v[48:49], v[34:35]
	v_fma_f64 v[112:113], v[86:87], s[18:19], v[88:89]
	v_fma_f64 v[88:89], v[86:87], s[18:19], -v[88:89]
	v_fma_f64 v[114:115], v[86:87], s[12:13], v[90:91]
	v_fma_f64 v[90:91], v[86:87], s[12:13], -v[90:91]
	;; [unrolled: 2-line block ×5, first 2 shown]
	v_add_f64_e32 v[2:3], v[2:3], v[42:43]
	v_add_f64_e32 v[86:87], v[6:7], v[96:97]
	;; [unrolled: 1-line block ×12, first 2 shown]
	v_mul_f64_e32 v[104:105], s[20:21], v[8:9]
	v_mul_f64_e32 v[8:9], s[26:27], v[8:9]
	v_fma_f64 v[126:127], v[84:85], s[14:15], v[106:107]
	v_fma_f64 v[106:107], v[84:85], s[14:15], -v[106:107]
	v_fma_f64 v[128:129], v[84:85], s[18:19], v[108:109]
	v_fma_f64 v[108:109], v[84:85], s[18:19], -v[108:109]
	;; [unrolled: 2-line block ×5, first 2 shown]
	v_add_f64_e32 v[2:3], v[2:3], v[26:27]
	v_add_f64_e32 v[84:85], v[112:113], v[86:87]
	;; [unrolled: 1-line block ×5, first 2 shown]
	v_mul_f64_e32 v[96:97], s[26:27], v[10:11]
	v_add_f64_e32 v[88:89], v[116:117], v[98:99]
	v_add_f64_e32 v[82:83], v[92:93], v[82:83]
	;; [unrolled: 1-line block ×7, first 2 shown]
	v_mul_f64_e32 v[94:95], s[24:25], v[10:11]
	v_fma_f64 v[100:101], v[64:65], s[10:11], v[69:70]
	v_fma_f64 v[69:70], v[64:65], s[10:11], -v[69:70]
	v_fma_f64 v[102:103], v[64:65], s[4:5], v[104:105]
	v_fma_f64 v[104:105], v[64:65], s[4:5], -v[104:105]
	;; [unrolled: 2-line block ×5, first 2 shown]
	v_mul_f64_e32 v[98:99], s[22:23], v[10:11]
	v_mul_f64_e32 v[10:11], s[20:21], v[10:11]
	v_add_f64_e32 v[2:3], v[2:3], v[36:37]
	v_add_f64_e32 v[64:65], v[126:127], v[84:85]
	;; [unrolled: 1-line block ×11, first 2 shown]
	v_fma_f64 v[90:91], v[92:93], s[10:11], v[71:72]
	v_fma_f64 v[82:83], v[92:93], s[12:13], v[94:95]
	v_fma_f64 v[88:89], v[92:93], s[12:13], -v[94:95]
	v_fma_f64 v[71:72], v[92:93], s[10:11], -v[71:72]
	v_fma_f64 v[94:95], v[92:93], s[14:15], v[96:97]
	v_fma_f64 v[96:97], v[92:93], s[14:15], -v[96:97]
	v_fma_f64 v[106:107], v[92:93], s[18:19], v[98:99]
	;; [unrolled: 2-line block ×3, first 2 shown]
	v_fma_f64 v[10:11], v[92:93], s[4:5], -v[10:11]
	v_add_f64_e32 v[2:3], v[2:3], v[32:33]
	v_add_f64_e32 v[64:65], v[100:101], v[64:65]
	v_add_f64_e32 v[66:67], v[69:70], v[66:67]
	v_add_f64_e32 v[69:70], v[102:103], v[84:85]
	v_add_f64_e32 v[73:74], v[104:105], v[73:74]
	v_add_f64_e32 v[84:85], v[112:113], v[86:87]
	v_add_f64_e32 v[80:81], v[114:115], v[80:81]
	v_add_f64_e32 v[8:9], v[8:9], v[12:13]
	v_add_f64_e32 v[12:13], v[118:119], v[54:55]
	v_add_f64_e32 v[4:5], v[116:117], v[4:5]
	v_add_f64_e32 v[6:7], v[120:121], v[6:7]
	v_add_f64_e32 v[2:3], v[2:3], v[34:35]
	v_add_f64_e32 v[54:55], v[82:83], v[64:65]
	v_add_f64_e32 v[64:65], v[88:89], v[66:67]
	v_add_f64_e32 v[66:67], v[90:91], v[69:70]
	v_add_f64_e32 v[69:70], v[71:72], v[73:74]
	v_add_f64_e32 v[71:72], v[94:95], v[84:85]
	v_add_f64_e32 v[73:74], v[96:97], v[80:81]
	v_add_f64_e32 v[8:9], v[10:11], v[8:9]
	v_add_f64_e32 v[10:11], v[98:99], v[12:13]
	v_add_f64_e32 v[4:5], v[106:107], v[4:5]
	v_add_f64_e32 v[6:7], v[108:109], v[6:7]
	v_mul_u32_u24_e32 v12, 0xb0, v68
	s_delay_alu instid0(VALU_DEP_1) | instskip(NEXT) | instid1(VALU_DEP_1)
	v_or_b32_e32 v12, v12, v62
	v_lshl_add_u32 v12, v12, 3, 0
	v_add_f64_e32 v[2:3], v[2:3], v[28:29]
	s_delay_alu instid0(VALU_DEP_1)
	v_add_f64_e32 v[2:3], v[2:3], v[30:31]
	ds_store_2addr_b64 v12, v[69:70], v[64:65] offset0:64 offset1:80
	ds_store_2addr_b64 v12, v[54:55], v[66:67] offset0:96 offset1:112
	;; [unrolled: 1-line block ×4, first 2 shown]
	ds_store_2addr_b64 v12, v[2:3], v[8:9] offset1:16
	ds_store_b64 v12, v[6:7] offset:1280
.LBB0_41:
	s_wait_alu 0xfffe
	s_or_b32 exec_lo, exec_lo, s1
	v_add_nc_u32_e32 v69, 0xa00, v78
	v_add_nc_u32_e32 v71, 0x2000, v78
	;; [unrolled: 1-line block ×3, first 2 shown]
	global_wb scope:SCOPE_SE
	s_wait_dscnt 0x0
	s_barrier_signal -1
	s_barrier_wait -1
	global_inv scope:SCOPE_SE
	ds_load_b64 v[54:55], v78
	ds_load_2addr_b64 v[2:5], v69 offset0:32 offset1:208
	ds_load_2addr_b64 v[10:13], v71 offset0:32 offset1:208
	;; [unrolled: 1-line block ×3, first 2 shown]
	ds_load_b64 v[64:65], v77
	ds_load_b64 v[66:67], v78 offset:11264
	global_wb scope:SCOPE_SE
	s_wait_dscnt 0x0
	s_barrier_signal -1
	s_barrier_wait -1
	global_inv scope:SCOPE_SE
	s_and_saveexec_b32 s33, s0
	s_cbranch_execz .LBB0_43
; %bb.42:
	v_add_f64_e32 v[72:73], v[0:1], v[38:39]
	v_add_f64_e64 v[30:31], v[52:53], -v[30:31]
	s_mov_b32 s26, 0xf8bb580b
	s_mov_b32 s14, 0x43842ef
	;; [unrolled: 1-line block ×10, first 2 shown]
	v_add_f64_e32 v[38:39], v[38:39], v[14:15]
	v_add_f64_e64 v[28:29], v[50:51], -v[28:29]
	s_mov_b32 s10, 0x8764f0ba
	s_mov_b32 s0, 0xd9c712b6
	;; [unrolled: 1-line block ×10, first 2 shown]
	s_wait_alu 0xfffe
	s_mov_b32 s34, s22
	s_mov_b32 s30, s14
	s_mov_b32 s28, s26
	s_mov_b32 s24, 0x9bcd5057
	s_mov_b32 s21, 0xbfe4f49e
	s_mov_b32 s25, 0xbfeeb42a
	v_add_f64_e64 v[34:35], v[48:49], -v[34:35]
	v_add_f64_e64 v[32:33], v[42:43], -v[32:33]
	;; [unrolled: 1-line block ×3, first 2 shown]
	v_add_f64_e32 v[72:73], v[72:73], v[46:47]
	v_mul_f64_e32 v[50:51], s[26:27], v[30:31]
	v_mul_f64_e32 v[74:75], s[14:15], v[30:31]
	;; [unrolled: 1-line block ×3, first 2 shown]
	v_add_f64_e32 v[46:47], v[46:47], v[16:17]
	v_mul_f64_e32 v[48:49], s[12:13], v[28:29]
	v_mul_f64_e32 v[82:83], s[18:19], v[28:29]
	s_wait_alu 0xfffe
	v_mul_f64_e32 v[84:85], s[34:35], v[28:29]
	v_mul_f64_e32 v[86:87], s[30:31], v[28:29]
	;; [unrolled: 1-line block ×8, first 2 shown]
	v_add_f64_e32 v[52:53], v[72:73], v[44:45]
	v_mul_f64_e32 v[72:73], s[12:13], v[30:31]
	v_mul_f64_e32 v[30:31], s[22:23], v[30:31]
	v_fma_f64 v[88:89], v[38:39], s[10:11], v[50:51]
	v_fma_f64 v[92:93], v[38:39], s[4:5], v[74:75]
	;; [unrolled: 1-line block ×3, first 2 shown]
	v_fma_f64 v[80:81], v[38:39], s[20:21], -v[80:81]
	v_fma_f64 v[74:75], v[38:39], s[4:5], -v[74:75]
	s_mov_b32 s13, 0x3fed1bb4
	v_add_f64_e32 v[44:45], v[44:45], v[18:19]
	v_fma_f64 v[102:103], v[46:47], s[0:1], v[48:49]
	v_fma_f64 v[48:49], v[46:47], s[0:1], -v[48:49]
	v_fma_f64 v[104:105], v[46:47], s[20:21], v[82:83]
	v_fma_f64 v[82:83], v[46:47], s[20:21], -v[82:83]
	;; [unrolled: 2-line block ×5, first 2 shown]
	v_add_f64_e32 v[52:53], v[52:53], v[40:41]
	v_fma_f64 v[90:91], v[38:39], s[0:1], v[72:73]
	v_fma_f64 v[72:73], v[38:39], s[0:1], -v[72:73]
	v_fma_f64 v[96:97], v[38:39], s[24:25], v[30:31]
	v_fma_f64 v[30:31], v[38:39], s[24:25], -v[30:31]
	v_fma_f64 v[38:39], v[38:39], s[10:11], -v[50:51]
	v_mul_f64_e32 v[50:51], s[34:35], v[34:35]
	s_wait_alu 0xfffe
	v_mul_f64_e32 v[34:35], s[12:13], v[34:35]
	v_add_f64_e32 v[46:47], v[0:1], v[88:89]
	v_add_f64_e32 v[80:81], v[0:1], v[80:81]
	;; [unrolled: 1-line block ×3, first 2 shown]
	v_fma_f64 v[114:115], v[44:45], s[4:5], v[42:43]
	v_fma_f64 v[42:43], v[44:45], s[4:5], -v[42:43]
	v_fma_f64 v[118:119], v[44:45], s[10:11], v[98:99]
	v_fma_f64 v[98:99], v[44:45], s[10:11], -v[98:99]
	;; [unrolled: 2-line block ×3, first 2 shown]
	v_add_f64_e32 v[52:53], v[52:53], v[20:21]
	v_add_f64_e32 v[88:89], v[0:1], v[90:91]
	;; [unrolled: 1-line block ×9, first 2 shown]
	v_mul_f64_e32 v[40:41], s[30:31], v[32:33]
	v_mul_f64_e32 v[96:97], s[26:27], v[32:33]
	;; [unrolled: 1-line block ×3, first 2 shown]
	v_fma_f64 v[116:117], v[44:45], s[24:25], v[50:51]
	v_fma_f64 v[50:51], v[44:45], s[24:25], -v[50:51]
	v_fma_f64 v[122:123], v[44:45], s[0:1], v[34:35]
	v_fma_f64 v[34:35], v[44:45], s[0:1], -v[34:35]
	v_add_f64_e32 v[44:45], v[102:103], v[46:47]
	v_add_f64_e32 v[80:81], v[86:87], v[80:81]
	;; [unrolled: 1-line block ×12, first 2 shown]
	v_mul_f64_e32 v[22:23], s[22:23], v[26:27]
	v_mul_f64_e32 v[48:49], s[28:29], v[26:27]
	;; [unrolled: 1-line block ×3, first 2 shown]
	v_fma_f64 v[84:85], v[38:39], s[20:21], v[36:37]
	v_fma_f64 v[36:37], v[38:39], s[20:21], -v[36:37]
	v_fma_f64 v[90:91], v[38:39], s[4:5], v[40:41]
	v_fma_f64 v[40:41], v[38:39], s[4:5], -v[40:41]
	;; [unrolled: 2-line block ×5, first 2 shown]
	v_add_f64_e32 v[38:39], v[114:115], v[44:45]
	v_add_f64_e32 v[80:81], v[98:99], v[80:81]
	;; [unrolled: 1-line block ×3, first 2 shown]
	v_mul_f64_e32 v[52:53], s[18:19], v[26:27]
	v_mul_f64_e32 v[26:27], s[12:13], v[26:27]
	v_add_f64_e32 v[44:45], v[116:117], v[46:47]
	v_add_f64_e32 v[46:47], v[50:51], v[72:73]
	;; [unrolled: 1-line block ×8, first 2 shown]
	v_fma_f64 v[34:35], v[20:21], s[10:11], v[48:49]
	v_fma_f64 v[42:43], v[20:21], s[10:11], -v[48:49]
	v_fma_f64 v[86:87], v[20:21], s[4:5], v[74:75]
	v_fma_f64 v[74:75], v[20:21], s[4:5], -v[74:75]
	v_add_f64_e32 v[18:19], v[24:25], v[18:19]
	v_fma_f64 v[24:25], v[20:21], s[24:25], v[22:23]
	v_fma_f64 v[22:23], v[20:21], s[24:25], -v[22:23]
	v_fma_f64 v[48:49], v[20:21], s[20:21], v[52:53]
	v_fma_f64 v[52:53], v[20:21], s[20:21], -v[52:53]
	v_fma_f64 v[88:89], v[20:21], s[0:1], v[26:27]
	v_fma_f64 v[20:21], v[20:21], s[0:1], -v[26:27]
	v_add_f64_e32 v[26:27], v[84:85], v[38:39]
	v_add_f64_e32 v[38:39], v[90:91], v[44:45]
	;; [unrolled: 1-line block ×22, first 2 shown]
	v_mul_u32_u24_e32 v16, 0xb0, v68
	s_delay_alu instid0(VALU_DEP_1) | instskip(NEXT) | instid1(VALU_DEP_1)
	v_or_b32_e32 v16, v16, v62
	v_lshl_add_u32 v16, v16, 3, 0
	ds_store_2addr_b64 v16, v[24:25], v[32:33] offset0:32 offset1:48
	ds_store_2addr_b64 v16, v[34:35], v[36:37] offset0:64 offset1:80
	;; [unrolled: 1-line block ×4, first 2 shown]
	ds_store_2addr_b64 v16, v[14:15], v[18:19] offset1:16
	ds_store_b64 v16, v[0:1] offset:1280
.LBB0_43:
	s_or_b32 exec_lo, exec_lo, s33
	v_and_b32_e32 v0, 0xffff, v79
	global_wb scope:SCOPE_SE
	s_wait_dscnt 0x0
	s_barrier_signal -1
	s_barrier_wait -1
	global_inv scope:SCOPE_SE
	v_mul_u32_u24_e32 v0, 0xba2f, v0
	s_mov_b32 s5, 0xbfebb67a
	s_delay_alu instid0(VALU_DEP_1) | instskip(NEXT) | instid1(VALU_DEP_1)
	v_lshrrev_b32_e32 v0, 23, v0
	v_mul_lo_u16 v0, 0xb0, v0
	s_delay_alu instid0(VALU_DEP_1) | instskip(SKIP_1) | instid1(VALU_DEP_1)
	v_sub_nc_u16 v14, v79, v0
	v_mov_b32_e32 v62, 0
	v_lshlrev_b64_e32 v[0:1], 4, v[61:62]
	s_delay_alu instid0(VALU_DEP_3) | instskip(NEXT) | instid1(VALU_DEP_2)
	v_and_b32_e32 v61, 0xffff, v14
	v_add_co_u32 v18, s0, s8, v0
	s_wait_alu 0xf1ff
	s_delay_alu instid0(VALU_DEP_3) | instskip(NEXT) | instid1(VALU_DEP_3)
	v_add_co_ci_u32_e64 v19, s0, s9, v1, s0
	v_lshlrev_b32_e32 v0, 5, v61
	s_mov_b32 s0, 0xe8584caa
	s_clause 0x3
	global_load_b128 v[14:17], v[18:19], off offset:2752
	global_load_b128 v[20:23], v[18:19], off offset:2768
	global_load_b128 v[24:27], v0, s[8:9] offset:2752
	global_load_b128 v[28:31], v0, s[8:9] offset:2768
	ds_load_2addr_b64 v[32:35], v69 offset0:32 offset1:208
	ds_load_2addr_b64 v[36:39], v71 offset0:32 offset1:208
	;; [unrolled: 1-line block ×3, first 2 shown]
	ds_load_b64 v[0:1], v78 offset:11264
	s_mov_b32 s1, 0x3febb67a
	s_wait_alu 0xfffe
	s_mov_b32 s4, s0
	s_wait_loadcnt_dscnt 0x303
	v_mul_f64_e32 v[44:45], v[34:35], v[16:17]
	s_wait_loadcnt_dscnt 0x202
	v_mul_f64_e32 v[46:47], v[36:37], v[22:23]
	s_wait_dscnt 0x1
	v_mul_f64_e32 v[48:49], v[40:41], v[16:17]
	v_mul_f64_e32 v[50:51], v[38:39], v[22:23]
	s_wait_loadcnt 0x1
	v_mul_f64_e32 v[52:53], v[42:43], v[26:27]
	s_wait_loadcnt_dscnt 0x0
	v_mul_f64_e32 v[72:73], v[0:1], v[30:31]
	v_mul_f64_e32 v[74:75], v[4:5], v[16:17]
	;; [unrolled: 1-line block ×7, first 2 shown]
	v_fma_f64 v[4:5], v[4:5], v[14:15], -v[44:45]
	v_fma_f64 v[10:11], v[10:11], v[20:21], -v[46:47]
	;; [unrolled: 1-line block ×6, first 2 shown]
	v_fma_f64 v[34:35], v[34:35], v[14:15], v[74:75]
	v_fma_f64 v[36:37], v[36:37], v[20:21], v[79:80]
	;; [unrolled: 1-line block ×6, first 2 shown]
	ds_load_b64 v[40:41], v78
	ds_load_b64 v[42:43], v77
	global_wb scope:SCOPE_SE
	s_wait_dscnt 0x0
	s_barrier_signal -1
	s_barrier_wait -1
	global_inv scope:SCOPE_SE
	v_add_f64_e32 v[46:47], v[54:55], v[4:5]
	v_add_f64_e32 v[22:23], v[4:5], v[10:11]
	;; [unrolled: 1-line block ×6, first 2 shown]
	v_add_f64_e64 v[4:5], v[4:5], -v[10:11]
	v_add_f64_e32 v[28:29], v[34:35], v[36:37]
	v_add_f64_e64 v[48:49], v[34:35], -v[36:37]
	v_add_f64_e32 v[30:31], v[14:15], v[16:17]
	v_add_f64_e64 v[6:7], v[6:7], -v[12:13]
	v_add_f64_e32 v[38:39], v[20:21], v[0:1]
	v_add_f64_e64 v[8:9], v[8:9], -v[44:45]
	v_add_f64_e32 v[10:11], v[46:47], v[10:11]
	v_fma_f64 v[22:23], v[22:23], -0.5, v[54:55]
	v_add_f64_e64 v[54:55], v[14:15], -v[16:17]
	v_fma_f64 v[24:25], v[24:25], -0.5, v[64:65]
	v_add_f64_e64 v[64:65], v[20:21], -v[0:1]
	v_fma_f64 v[2:3], v[26:27], -0.5, v[2:3]
	v_add_f64_e32 v[26:27], v[40:41], v[34:35]
	v_fma_f64 v[28:29], v[28:29], -0.5, v[40:41]
	v_add_f64_e32 v[14:15], v[42:43], v[14:15]
	;; [unrolled: 2-line block ×4, first 2 shown]
	v_add_f64_e32 v[34:35], v[52:53], v[44:45]
	v_lshl_add_u32 v50, v61, 3, 0
	s_delay_alu instid0(VALU_DEP_1)
	v_add_nc_u32_e32 v51, 0x2000, v50
	v_fma_f64 v[38:39], v[48:49], s[0:1], v[22:23]
	s_wait_alu 0xfffe
	v_fma_f64 v[22:23], v[48:49], s[4:5], v[22:23]
	v_fma_f64 v[40:41], v[54:55], s[0:1], v[24:25]
	v_fma_f64 v[24:25], v[54:55], s[4:5], v[24:25]
	v_fma_f64 v[42:43], v[64:65], s[0:1], v[2:3]
	v_fma_f64 v[2:3], v[64:65], s[4:5], v[2:3]
	v_add_f64_e32 v[26:27], v[26:27], v[36:37]
	v_fma_f64 v[44:45], v[4:5], s[4:5], v[28:29]
	v_add_f64_e32 v[36:37], v[14:15], v[16:17]
	v_fma_f64 v[28:29], v[4:5], s[0:1], v[28:29]
	v_fma_f64 v[46:47], v[6:7], s[4:5], v[30:31]
	;; [unrolled: 1-line block ×3, first 2 shown]
	v_add_f64_e32 v[20:21], v[20:21], v[0:1]
	v_fma_f64 v[48:49], v[8:9], s[4:5], v[32:33]
	v_fma_f64 v[32:33], v[8:9], s[0:1], v[32:33]
	ds_store_2addr_b64 v78, v[10:11], v[38:39] offset1:176
	ds_store_2addr_b64 v69, v[22:23], v[12:13] offset0:32 offset1:208
	ds_store_2addr_b64 v70, v[40:41], v[24:25] offset0:64 offset1:240
	;; [unrolled: 1-line block ×3, first 2 shown]
	ds_store_b64 v50, v[2:3] offset:11264
	global_wb scope:SCOPE_SE
	s_wait_dscnt 0x0
	s_barrier_signal -1
	s_barrier_wait -1
	global_inv scope:SCOPE_SE
	ds_load_b64 v[14:15], v78
	ds_load_2addr_b64 v[0:3], v69 offset0:32 offset1:208
	ds_load_2addr_b64 v[4:7], v71 offset0:32 offset1:208
	ds_load_2addr_b64 v[8:11], v70 offset0:64 offset1:240
	ds_load_b64 v[12:13], v77
	ds_load_b64 v[16:17], v78 offset:11264
	global_wb scope:SCOPE_SE
	s_wait_dscnt 0x0
	s_barrier_signal -1
	s_barrier_wait -1
	global_inv scope:SCOPE_SE
	ds_store_2addr_b64 v78, v[26:27], v[44:45] offset1:176
	ds_store_2addr_b64 v69, v[28:29], v[36:37] offset0:32 offset1:208
	ds_store_2addr_b64 v70, v[46:47], v[30:31] offset0:64 offset1:240
	;; [unrolled: 1-line block ×3, first 2 shown]
	ds_store_b64 v50, v[32:33] offset:11264
	global_wb scope:SCOPE_SE
	s_wait_dscnt 0x0
	s_barrier_signal -1
	s_barrier_wait -1
	global_inv scope:SCOPE_SE
	s_and_saveexec_b32 s10, vcc_lo
	s_cbranch_execz .LBB0_45
; %bb.44:
	v_dual_mov_b32 v64, v62 :: v_dual_mov_b32 v61, v62
	s_clause 0x1
	global_load_b128 v[20:23], v[18:19], off offset:8400
	global_load_b128 v[24:27], v[18:19], off offset:8384
	v_add_nc_u32_e32 v52, 0x1400, v78
	v_mul_lo_u32 v74, s3, v58
	v_lshlrev_b64_e32 v[28:29], 4, v[63:64]
	v_lshlrev_b64_e32 v[18:19], 4, v[60:61]
	v_mul_lo_u32 v75, s2, v59
	v_mad_co_u64_u32 v[58:59], null, s2, v58, 0
	v_add_nc_u32_e32 v79, 0xb0, v76
	v_add_co_u32 v32, vcc_lo, s8, v28
	s_wait_alu 0xfffd
	v_add_co_ci_u32_e32 v33, vcc_lo, s9, v29, vcc_lo
	v_add_co_u32 v18, vcc_lo, s8, v18
	s_wait_alu 0xfffd
	v_add_co_ci_u32_e32 v19, vcc_lo, s9, v19, vcc_lo
	s_clause 0x3
	global_load_b128 v[28:31], v[32:33], off offset:8384
	global_load_b128 v[32:35], v[32:33], off offset:8400
	;; [unrolled: 1-line block ×4, first 2 shown]
	v_add_nc_u32_e32 v18, 0xa00, v78
	v_add_nc_u32_e32 v19, 0x2000, v78
	;; [unrolled: 1-line block ×3, first 2 shown]
	ds_load_2addr_b64 v[44:47], v18 offset0:32 offset1:208
	ds_load_2addr_b64 v[48:51], v19 offset0:32 offset1:208
	;; [unrolled: 1-line block ×3, first 2 shown]
	ds_load_b64 v[18:19], v78 offset:11264
	ds_load_b64 v[60:61], v78
	v_add3_u32 v59, v59, v75, v74
	ds_load_b64 v[74:75], v77
	v_mul_hi_u32 v78, 0x3e0f83e1, v76
	v_mul_hi_u32 v81, 0x3e0f83e1, v79
	v_mul_hi_u32 v82, 0x3e0f83e1, v80
	v_lshlrev_b64_e32 v[58:59], 4, v[58:59]
	v_lshlrev_b64_e32 v[56:57], 4, v[56:57]
	v_lshrrev_b32_e32 v78, 7, v78
	s_delay_alu instid0(VALU_DEP_3) | instskip(SKIP_1) | instid1(VALU_DEP_4)
	v_add_co_u32 v83, vcc_lo, s6, v58
	s_wait_alu 0xfffd
	v_add_co_ci_u32_e32 v84, vcc_lo, s7, v59, vcc_lo
	s_delay_alu instid0(VALU_DEP_3) | instskip(SKIP_3) | instid1(VALU_DEP_4)
	v_mul_u32_u24_e32 v77, 0x210, v78
	v_lshrrev_b32_e32 v78, 7, v81
	v_lshrrev_b32_e32 v81, 7, v82
	v_add_co_u32 v90, vcc_lo, v83, v56
	v_sub_nc_u32_e32 v76, v76, v77
	s_delay_alu instid0(VALU_DEP_4) | instskip(NEXT) | instid1(VALU_DEP_4)
	v_mul_u32_u24_e32 v77, 0x210, v78
	v_mul_u32_u24_e32 v82, 0x210, v81
	s_wait_alu 0xfffd
	v_add_co_ci_u32_e32 v91, vcc_lo, v84, v57, vcc_lo
	v_mad_co_u64_u32 v[58:59], null, s16, v76, 0
	v_sub_nc_u32_e32 v77, v79, v77
	v_sub_nc_u32_e32 v79, v80, v82
	s_wait_loadcnt_dscnt 0x504
	v_mul_f64_e32 v[64:65], v[48:49], v[22:23]
	s_wait_loadcnt 0x4
	v_mul_f64_e32 v[62:63], v[46:47], v[26:27]
	v_mul_f64_e32 v[26:27], v[2:3], v[26:27]
	;; [unrolled: 1-line block ×3, first 2 shown]
	s_wait_loadcnt_dscnt 0x303
	v_mul_f64_e32 v[66:67], v[54:55], v[30:31]
	s_wait_loadcnt_dscnt 0x202
	v_mul_f64_e32 v[68:69], v[18:19], v[34:35]
	v_mul_f64_e32 v[30:31], v[10:11], v[30:31]
	;; [unrolled: 1-line block ×3, first 2 shown]
	s_wait_loadcnt 0x1
	v_mul_f64_e32 v[70:71], v[52:53], v[38:39]
	s_wait_loadcnt 0x0
	v_mul_f64_e32 v[72:73], v[50:51], v[42:43]
	v_mul_f64_e32 v[38:39], v[8:9], v[38:39]
	;; [unrolled: 1-line block ×3, first 2 shown]
	v_fma_f64 v[4:5], v[4:5], v[20:21], -v[64:65]
	v_fma_f64 v[2:3], v[2:3], v[24:25], -v[62:63]
	v_fma_f64 v[24:25], v[24:25], v[46:47], v[26:27]
	v_fma_f64 v[20:21], v[20:21], v[48:49], v[22:23]
	v_fma_f64 v[10:11], v[10:11], v[28:29], -v[66:67]
	v_fma_f64 v[16:17], v[16:17], v[32:33], -v[68:69]
	v_fma_f64 v[22:23], v[28:29], v[54:55], v[30:31]
	v_fma_f64 v[18:19], v[32:33], v[18:19], v[34:35]
	;; [unrolled: 4-line block ×3, first 2 shown]
	v_mad_u32_u24 v68, 0x630, v81, v79
	v_mad_u32_u24 v67, 0x630, v78, v77
	v_mov_b32_e32 v34, v59
	s_delay_alu instid0(VALU_DEP_3) | instskip(NEXT) | instid1(VALU_DEP_3)
	v_add_nc_u32_e32 v92, 0x210, v68
	v_mad_co_u64_u32 v[35:36], null, s16, v67, 0
	v_add_nc_u32_e32 v93, 0x420, v68
	v_mad_co_u64_u32 v[37:38], null, s16, v68, 0
	s_delay_alu instid0(VALU_DEP_4) | instskip(SKIP_4) | instid1(VALU_DEP_4)
	v_mad_co_u64_u32 v[46:47], null, s16, v92, 0
	v_add_nc_u32_e32 v69, 0x210, v67
	v_mad_co_u64_u32 v[39:40], null, s17, v76, v[34:35]
	v_mad_co_u64_u32 v[52:53], null, s16, v93, 0
	v_add_nc_u32_e32 v86, 0x420, v76
	v_mad_co_u64_u32 v[40:41], null, s16, v69, 0
	v_add_nc_u32_e32 v85, 0x210, v76
	v_add_f64_e32 v[48:49], v[24:25], v[20:21]
	s_delay_alu instid0(VALU_DEP_4) | instskip(SKIP_1) | instid1(VALU_DEP_4)
	v_mad_co_u64_u32 v[32:33], null, s16, v86, 0
	v_add_f64_e32 v[50:51], v[2:3], v[4:5]
	v_mad_co_u64_u32 v[30:31], null, s16, v85, 0
	v_mov_b32_e32 v59, v39
	s_wait_dscnt 0x1
	v_add_f64_e32 v[72:73], v[24:25], v[60:61]
	v_add_f64_e32 v[76:77], v[14:15], v[2:3]
	;; [unrolled: 1-line block ×3, first 2 shown]
	v_add_f64_e64 v[24:25], v[24:25], -v[20:21]
	v_add_f64_e32 v[54:55], v[22:23], v[18:19]
	v_mad_co_u64_u32 v[62:63], null, s17, v85, v[31:32]
	v_add_f64_e32 v[65:66], v[8:9], v[26:27]
	v_add_f64_e32 v[63:64], v[6:7], v[28:29]
	v_dual_mov_b32 v31, v36 :: v_dual_add_nc_u32 v70, 0x420, v67
	v_dual_mov_b32 v36, v41 :: v_dual_mov_b32 v41, v53
	v_mad_co_u64_u32 v[33:34], null, s17, v86, v[33:34]
	v_mov_b32_e32 v34, v38
	s_delay_alu instid0(VALU_DEP_4) | instskip(SKIP_2) | instid1(VALU_DEP_4)
	v_mad_co_u64_u32 v[38:39], null, s17, v67, v[31:32]
	v_mov_b32_e32 v31, v62
	v_mad_co_u64_u32 v[42:43], null, s16, v70, 0
	v_mad_co_u64_u32 v[67:68], null, s17, v68, v[34:35]
	v_mov_b32_e32 v34, v47
	v_mad_co_u64_u32 v[68:69], null, s17, v69, v[36:37]
	v_add_f64_e32 v[78:79], v[22:23], v[44:45]
	v_mov_b32_e32 v39, v43
	v_add_f64_e32 v[80:81], v[0:1], v[10:11]
	s_wait_dscnt 0x0
	v_add_f64_e32 v[82:83], v[6:7], v[74:75]
	v_add_f64_e32 v[84:85], v[12:13], v[8:9]
	v_fma_f64 v[48:49], v[48:49], -0.5, v[60:61]
	v_mad_co_u64_u32 v[69:70], null, s17, v70, v[39:40]
	v_add_f64_e64 v[70:71], v[2:3], -v[4:5]
	v_fma_f64 v[50:51], v[50:51], -0.5, v[14:15]
	v_add_f64_e64 v[88:89], v[6:7], -v[28:29]
	v_add_f64_e64 v[60:61], v[10:11], -v[16:17]
	;; [unrolled: 1-line block ×3, first 2 shown]
	v_lshlrev_b64_e32 v[58:59], 4, v[58:59]
	v_fma_f64 v[56:57], v[56:57], -0.5, v[0:1]
	v_mad_co_u64_u32 v[0:1], null, s17, v92, v[34:35]
	v_fma_f64 v[44:45], v[54:55], -0.5, v[44:45]
	v_add_f64_e64 v[54:55], v[8:9], -v[26:27]
	v_mov_b32_e32 v36, v38
	v_fma_f64 v[62:63], v[63:64], -0.5, v[74:75]
	v_fma_f64 v[64:65], v[65:66], -0.5, v[12:13]
	v_mad_co_u64_u32 v[1:2], null, s17, v93, v[41:42]
	v_lshlrev_b64_e32 v[2:3], 4, v[30:31]
	v_dual_mov_b32 v38, v67 :: v_dual_mov_b32 v43, v69
	v_add_co_u32 v58, vcc_lo, v90, v58
	s_wait_alu 0xfffd
	v_add_co_ci_u32_e32 v59, vcc_lo, v91, v59, vcc_lo
	v_lshlrev_b64_e32 v[66:67], 4, v[35:36]
	v_lshlrev_b64_e32 v[36:37], 4, v[37:38]
	v_add_co_u32 v38, vcc_lo, v90, v2
	v_mov_b32_e32 v47, v0
	v_mov_b32_e32 v53, v1
	s_wait_alu 0xfffd
	v_add_co_ci_u32_e32 v39, vcc_lo, v91, v3, vcc_lo
	v_add_f64_e32 v[2:3], v[72:73], v[20:21]
	v_add_f64_e32 v[0:1], v[76:77], v[4:5]
	;; [unrolled: 1-line block ×6, first 2 shown]
	v_lshlrev_b64_e32 v[74:75], 4, v[32:33]
	v_fma_f64 v[18:19], v[70:71], s[4:5], v[48:49]
	v_fma_f64 v[16:17], v[24:25], s[0:1], v[50:51]
	;; [unrolled: 1-line block ×4, first 2 shown]
	v_mov_b32_e32 v41, v68
	v_lshlrev_b64_e32 v[42:43], 4, v[42:43]
	v_fma_f64 v[24:25], v[86:87], s[0:1], v[56:57]
	v_fma_f64 v[20:21], v[86:87], s[4:5], v[56:57]
	v_lshlrev_b64_e32 v[46:47], 4, v[46:47]
	v_fma_f64 v[26:27], v[60:61], s[4:5], v[44:45]
	v_fma_f64 v[22:23], v[60:61], s[0:1], v[44:45]
	v_add_co_u32 v44, vcc_lo, v90, v74
	v_fma_f64 v[34:35], v[54:55], s[4:5], v[62:63]
	v_fma_f64 v[32:33], v[88:89], s[0:1], v[64:65]
	;; [unrolled: 1-line block ×4, first 2 shown]
	s_wait_alu 0xfffd
	v_add_co_ci_u32_e32 v45, vcc_lo, v91, v75, vcc_lo
	v_lshlrev_b64_e32 v[40:41], 4, v[40:41]
	v_add_co_u32 v50, vcc_lo, v90, v66
	s_wait_alu 0xfffd
	v_add_co_ci_u32_e32 v51, vcc_lo, v91, v67, vcc_lo
	v_add_co_u32 v36, vcc_lo, v90, v36
	s_wait_alu 0xfffd
	v_add_co_ci_u32_e32 v37, vcc_lo, v91, v37, vcc_lo
	;; [unrolled: 3-line block ×3, first 2 shown]
	v_lshlrev_b64_e32 v[48:49], 4, v[52:53]
	v_add_co_u32 v42, vcc_lo, v90, v42
	s_wait_alu 0xfffd
	v_add_co_ci_u32_e32 v43, vcc_lo, v91, v43, vcc_lo
	v_add_co_u32 v46, vcc_lo, v90, v46
	s_wait_alu 0xfffd
	v_add_co_ci_u32_e32 v47, vcc_lo, v91, v47, vcc_lo
	;; [unrolled: 3-line block ×3, first 2 shown]
	s_clause 0x8
	global_store_b128 v[58:59], v[0:3], off
	global_store_b128 v[38:39], v[16:19], off
	;; [unrolled: 1-line block ×9, first 2 shown]
.LBB0_45:
	s_nop 0
	s_sendmsg sendmsg(MSG_DEALLOC_VGPRS)
	s_endpgm
	.section	.rodata,"a",@progbits
	.p2align	6, 0x0
	.amdhsa_kernel fft_rtc_fwd_len1584_factors_4_2_2_11_3_3_wgs_176_tpt_176_halfLds_dp_op_CI_CI_sbrr_dirReg
		.amdhsa_group_segment_fixed_size 0
		.amdhsa_private_segment_fixed_size 0
		.amdhsa_kernarg_size 104
		.amdhsa_user_sgpr_count 2
		.amdhsa_user_sgpr_dispatch_ptr 0
		.amdhsa_user_sgpr_queue_ptr 0
		.amdhsa_user_sgpr_kernarg_segment_ptr 1
		.amdhsa_user_sgpr_dispatch_id 0
		.amdhsa_user_sgpr_private_segment_size 0
		.amdhsa_wavefront_size32 1
		.amdhsa_uses_dynamic_stack 0
		.amdhsa_enable_private_segment 0
		.amdhsa_system_sgpr_workgroup_id_x 1
		.amdhsa_system_sgpr_workgroup_id_y 0
		.amdhsa_system_sgpr_workgroup_id_z 0
		.amdhsa_system_sgpr_workgroup_info 0
		.amdhsa_system_vgpr_workitem_id 0
		.amdhsa_next_free_vgpr 136
		.amdhsa_next_free_sgpr 43
		.amdhsa_reserve_vcc 1
		.amdhsa_float_round_mode_32 0
		.amdhsa_float_round_mode_16_64 0
		.amdhsa_float_denorm_mode_32 3
		.amdhsa_float_denorm_mode_16_64 3
		.amdhsa_fp16_overflow 0
		.amdhsa_workgroup_processor_mode 1
		.amdhsa_memory_ordered 1
		.amdhsa_forward_progress 0
		.amdhsa_round_robin_scheduling 0
		.amdhsa_exception_fp_ieee_invalid_op 0
		.amdhsa_exception_fp_denorm_src 0
		.amdhsa_exception_fp_ieee_div_zero 0
		.amdhsa_exception_fp_ieee_overflow 0
		.amdhsa_exception_fp_ieee_underflow 0
		.amdhsa_exception_fp_ieee_inexact 0
		.amdhsa_exception_int_div_zero 0
	.end_amdhsa_kernel
	.text
.Lfunc_end0:
	.size	fft_rtc_fwd_len1584_factors_4_2_2_11_3_3_wgs_176_tpt_176_halfLds_dp_op_CI_CI_sbrr_dirReg, .Lfunc_end0-fft_rtc_fwd_len1584_factors_4_2_2_11_3_3_wgs_176_tpt_176_halfLds_dp_op_CI_CI_sbrr_dirReg
                                        ; -- End function
	.section	.AMDGPU.csdata,"",@progbits
; Kernel info:
; codeLenInByte = 10280
; NumSgprs: 45
; NumVgprs: 136
; ScratchSize: 0
; MemoryBound: 1
; FloatMode: 240
; IeeeMode: 1
; LDSByteSize: 0 bytes/workgroup (compile time only)
; SGPRBlocks: 5
; VGPRBlocks: 16
; NumSGPRsForWavesPerEU: 45
; NumVGPRsForWavesPerEU: 136
; Occupancy: 10
; WaveLimiterHint : 1
; COMPUTE_PGM_RSRC2:SCRATCH_EN: 0
; COMPUTE_PGM_RSRC2:USER_SGPR: 2
; COMPUTE_PGM_RSRC2:TRAP_HANDLER: 0
; COMPUTE_PGM_RSRC2:TGID_X_EN: 1
; COMPUTE_PGM_RSRC2:TGID_Y_EN: 0
; COMPUTE_PGM_RSRC2:TGID_Z_EN: 0
; COMPUTE_PGM_RSRC2:TIDIG_COMP_CNT: 0
	.text
	.p2alignl 7, 3214868480
	.fill 96, 4, 3214868480
	.type	__hip_cuid_857cdfeec73f4b3,@object ; @__hip_cuid_857cdfeec73f4b3
	.section	.bss,"aw",@nobits
	.globl	__hip_cuid_857cdfeec73f4b3
__hip_cuid_857cdfeec73f4b3:
	.byte	0                               ; 0x0
	.size	__hip_cuid_857cdfeec73f4b3, 1

	.ident	"AMD clang version 19.0.0git (https://github.com/RadeonOpenCompute/llvm-project roc-6.4.0 25133 c7fe45cf4b819c5991fe208aaa96edf142730f1d)"
	.section	".note.GNU-stack","",@progbits
	.addrsig
	.addrsig_sym __hip_cuid_857cdfeec73f4b3
	.amdgpu_metadata
---
amdhsa.kernels:
  - .args:
      - .actual_access:  read_only
        .address_space:  global
        .offset:         0
        .size:           8
        .value_kind:     global_buffer
      - .offset:         8
        .size:           8
        .value_kind:     by_value
      - .actual_access:  read_only
        .address_space:  global
        .offset:         16
        .size:           8
        .value_kind:     global_buffer
      - .actual_access:  read_only
        .address_space:  global
        .offset:         24
        .size:           8
        .value_kind:     global_buffer
      - .actual_access:  read_only
        .address_space:  global
        .offset:         32
        .size:           8
        .value_kind:     global_buffer
      - .offset:         40
        .size:           8
        .value_kind:     by_value
      - .actual_access:  read_only
        .address_space:  global
        .offset:         48
        .size:           8
        .value_kind:     global_buffer
      - .actual_access:  read_only
        .address_space:  global
        .offset:         56
        .size:           8
        .value_kind:     global_buffer
      - .offset:         64
        .size:           4
        .value_kind:     by_value
      - .actual_access:  read_only
        .address_space:  global
        .offset:         72
        .size:           8
        .value_kind:     global_buffer
      - .actual_access:  read_only
        .address_space:  global
        .offset:         80
        .size:           8
        .value_kind:     global_buffer
      - .actual_access:  read_only
        .address_space:  global
        .offset:         88
        .size:           8
        .value_kind:     global_buffer
      - .actual_access:  write_only
        .address_space:  global
        .offset:         96
        .size:           8
        .value_kind:     global_buffer
    .group_segment_fixed_size: 0
    .kernarg_segment_align: 8
    .kernarg_segment_size: 104
    .language:       OpenCL C
    .language_version:
      - 2
      - 0
    .max_flat_workgroup_size: 176
    .name:           fft_rtc_fwd_len1584_factors_4_2_2_11_3_3_wgs_176_tpt_176_halfLds_dp_op_CI_CI_sbrr_dirReg
    .private_segment_fixed_size: 0
    .sgpr_count:     45
    .sgpr_spill_count: 0
    .symbol:         fft_rtc_fwd_len1584_factors_4_2_2_11_3_3_wgs_176_tpt_176_halfLds_dp_op_CI_CI_sbrr_dirReg.kd
    .uniform_work_group_size: 1
    .uses_dynamic_stack: false
    .vgpr_count:     136
    .vgpr_spill_count: 0
    .wavefront_size: 32
    .workgroup_processor_mode: 1
amdhsa.target:   amdgcn-amd-amdhsa--gfx1201
amdhsa.version:
  - 1
  - 2
...

	.end_amdgpu_metadata
